;; amdgpu-corpus repo=ROCm/rocThrust kind=compiled arch=gfx90a opt=O3
	.text
	.amdgcn_target "amdgcn-amd-amdhsa--gfx90a"
	.amdhsa_code_object_version 6
	.section	.text._ZN6thrust23THRUST_200600_302600_NS11hip_rocprim14__parallel_for6kernelILj256ENS1_11__transform17unary_transform_fINS0_12zip_iteratorINS0_5tupleINS0_6detail15normal_iteratorINS0_10device_ptrIiEEEESC_SC_SC_SC_SC_SC_SC_SC_NS0_17counting_iteratorIiNS0_11use_defaultESE_SE_EEEEEESC_NS4_14no_stencil_tagE10minFunctorNS4_21always_true_predicateEEElLj1EEEvT0_T1_SN_,"axG",@progbits,_ZN6thrust23THRUST_200600_302600_NS11hip_rocprim14__parallel_for6kernelILj256ENS1_11__transform17unary_transform_fINS0_12zip_iteratorINS0_5tupleINS0_6detail15normal_iteratorINS0_10device_ptrIiEEEESC_SC_SC_SC_SC_SC_SC_SC_NS0_17counting_iteratorIiNS0_11use_defaultESE_SE_EEEEEESC_NS4_14no_stencil_tagE10minFunctorNS4_21always_true_predicateEEElLj1EEEvT0_T1_SN_,comdat
	.protected	_ZN6thrust23THRUST_200600_302600_NS11hip_rocprim14__parallel_for6kernelILj256ENS1_11__transform17unary_transform_fINS0_12zip_iteratorINS0_5tupleINS0_6detail15normal_iteratorINS0_10device_ptrIiEEEESC_SC_SC_SC_SC_SC_SC_SC_NS0_17counting_iteratorIiNS0_11use_defaultESE_SE_EEEEEESC_NS4_14no_stencil_tagE10minFunctorNS4_21always_true_predicateEEElLj1EEEvT0_T1_SN_ ; -- Begin function _ZN6thrust23THRUST_200600_302600_NS11hip_rocprim14__parallel_for6kernelILj256ENS1_11__transform17unary_transform_fINS0_12zip_iteratorINS0_5tupleINS0_6detail15normal_iteratorINS0_10device_ptrIiEEEESC_SC_SC_SC_SC_SC_SC_SC_NS0_17counting_iteratorIiNS0_11use_defaultESE_SE_EEEEEESC_NS4_14no_stencil_tagE10minFunctorNS4_21always_true_predicateEEElLj1EEEvT0_T1_SN_
	.globl	_ZN6thrust23THRUST_200600_302600_NS11hip_rocprim14__parallel_for6kernelILj256ENS1_11__transform17unary_transform_fINS0_12zip_iteratorINS0_5tupleINS0_6detail15normal_iteratorINS0_10device_ptrIiEEEESC_SC_SC_SC_SC_SC_SC_SC_NS0_17counting_iteratorIiNS0_11use_defaultESE_SE_EEEEEESC_NS4_14no_stencil_tagE10minFunctorNS4_21always_true_predicateEEElLj1EEEvT0_T1_SN_
	.p2align	8
	.type	_ZN6thrust23THRUST_200600_302600_NS11hip_rocprim14__parallel_for6kernelILj256ENS1_11__transform17unary_transform_fINS0_12zip_iteratorINS0_5tupleINS0_6detail15normal_iteratorINS0_10device_ptrIiEEEESC_SC_SC_SC_SC_SC_SC_SC_NS0_17counting_iteratorIiNS0_11use_defaultESE_SE_EEEEEESC_NS4_14no_stencil_tagE10minFunctorNS4_21always_true_predicateEEElLj1EEEvT0_T1_SN_,@function
_ZN6thrust23THRUST_200600_302600_NS11hip_rocprim14__parallel_for6kernelILj256ENS1_11__transform17unary_transform_fINS0_12zip_iteratorINS0_5tupleINS0_6detail15normal_iteratorINS0_10device_ptrIiEEEESC_SC_SC_SC_SC_SC_SC_SC_NS0_17counting_iteratorIiNS0_11use_defaultESE_SE_EEEEEESC_NS4_14no_stencil_tagE10minFunctorNS4_21always_true_predicateEEElLj1EEEvT0_T1_SN_: ; @_ZN6thrust23THRUST_200600_302600_NS11hip_rocprim14__parallel_for6kernelILj256ENS1_11__transform17unary_transform_fINS0_12zip_iteratorINS0_5tupleINS0_6detail15normal_iteratorINS0_10device_ptrIiEEEESC_SC_SC_SC_SC_SC_SC_SC_NS0_17counting_iteratorIiNS0_11use_defaultESE_SE_EEEEEESC_NS4_14no_stencil_tagE10minFunctorNS4_21always_true_predicateEEElLj1EEEvT0_T1_SN_
; %bb.0:
	s_load_dwordx8 s[24:31], s[4:5], 0x58
	s_load_dwordx16 s[8:23], s[4:5], 0x0
	s_load_dwordx2 s[0:1], s[4:5], 0x40
	s_lshl_b32 s2, s6, 8
	v_mov_b32_e32 v2, 0x100
	s_waitcnt lgkmcnt(0)
	s_add_u32 s33, s2, s30
	s_addc_u32 s36, 0, s31
	s_sub_u32 s2, s28, s33
	s_load_dword s27, s[4:5], 0x48
	s_subb_u32 s3, s29, s36
	v_mov_b32_e32 v3, 0
	v_cmp_lt_i64_e32 vcc, s[2:3], v[2:3]
	s_and_b64 s[6:7], vcc, exec
	s_cselect_b32 s2, s2, 0x100
	s_cmpk_lg_i32 s2, 0x100
	s_cbranch_scc0 .LBB0_35
; %bb.1:
	v_cmp_gt_u32_e32 vcc, s2, v0
	s_mov_b64 s[2:3], 0
	s_mov_b64 s[28:29], 0
                                        ; implicit-def: $vgpr6
                                        ; implicit-def: $vgpr2_vgpr3
	s_and_saveexec_b64 s[6:7], vcc
	s_cbranch_execz .LBB0_36
; %bb.2:
	v_mov_b32_e32 v1, s36
	v_add_co_u32_e32 v2, vcc, s33, v0
	v_addc_co_u32_e32 v3, vcc, 0, v1, vcc
	v_lshlrev_b64 v[4:5], 2, v[2:3]
	v_mov_b32_e32 v1, s9
	v_add_co_u32_e32 v6, vcc, s8, v4
	v_addc_co_u32_e32 v7, vcc, v1, v5, vcc
	global_load_dword v6, v[6:7], off
	s_abs_i32 s37, s24
	v_cvt_f32_u32_e32 v1, s37
	s_waitcnt lgkmcnt(0)
	v_add_u32_e32 v7, s27, v2
	v_ashrrev_i32_e32 v8, 31, v7
	s_ashr_i32 s38, s24, 31
	v_rcp_iflag_f32_e32 v1, v1
	v_xor_b32_e32 v9, s38, v8
	v_sub_u32_e32 v8, 0, v7
	s_sub_i32 s28, 0, s37
	v_mul_f32_e32 v1, 0x4f7ffffe, v1
	v_cvt_u32_f32_e32 v1, v1
	v_max_i32_e32 v10, v7, v8
	v_mul_lo_u32 v8, s28, v1
	v_mul_hi_u32 v8, v1, v8
	v_add_u32_e32 v8, v1, v8
	v_mul_hi_u32 v1, v10, v8
	v_mul_lo_u32 v11, v1, s37
	v_sub_u32_e32 v10, v10, v11
	v_add_u32_e32 v11, 1, v1
	v_cmp_le_u32_e32 vcc, s37, v10
	v_cndmask_b32_e32 v1, v1, v11, vcc
	v_subrev_u32_e32 v11, s37, v10
	v_cndmask_b32_e32 v10, v10, v11, vcc
	v_add_u32_e32 v11, 1, v1
	v_cmp_le_u32_e32 vcc, s37, v10
	v_cndmask_b32_e32 v1, v1, v11, vcc
	v_xor_b32_e32 v1, v1, v9
	v_sub_u32_e32 v1, v1, v9
	v_mul_lo_u32 v9, v1, s24
	v_sub_u32_e32 v7, v7, v9
	v_cmp_le_i32_e32 vcc, s26, v7
	s_and_saveexec_b64 s[28:29], vcc
	s_cbranch_execz .LBB0_14
; %bb.3:
	v_mov_b32_e32 v9, s15
	v_add_co_u32_e32 v10, vcc, s14, v4
	v_addc_co_u32_e32 v11, vcc, v9, v5, vcc
	global_load_dword v9, v[10:11], off
	s_mul_i32 s39, s25, s24
	s_waitcnt vmcnt(0)
	v_cmp_ne_u32_e32 vcc, s39, v9
	s_and_saveexec_b64 s[30:31], vcc
	s_cbranch_execz .LBB0_5
; %bb.4:
	v_sub_u32_e32 v11, 0, v9
	v_max_i32_e32 v11, v9, v11
	v_mul_hi_u32 v12, v11, v8
	v_mul_lo_u32 v13, v12, s37
	v_sub_u32_e32 v11, v11, v13
	v_add_u32_e32 v13, 1, v12
	v_cmp_le_u32_e32 vcc, s37, v11
	v_cndmask_b32_e32 v12, v12, v13, vcc
	v_subrev_u32_e32 v13, s37, v11
	v_cndmask_b32_e32 v11, v11, v13, vcc
	v_add_u32_e32 v13, 1, v12
	v_cmp_le_u32_e32 vcc, s37, v11
	v_cndmask_b32_e32 v11, v12, v13, vcc
	v_sub_u32_e32 v13, 0, v6
	v_max_i32_e32 v13, v6, v13
	v_mul_hi_u32 v14, v13, v8
	v_mul_lo_u32 v15, v14, s37
	v_sub_u32_e32 v13, v13, v15
	v_add_u32_e32 v15, 1, v14
	v_cmp_le_u32_e32 vcc, s37, v13
	v_ashrrev_i32_e32 v10, 31, v9
	v_cndmask_b32_e32 v14, v14, v15, vcc
	v_subrev_u32_e32 v15, s37, v13
	v_xor_b32_e32 v10, s38, v10
	v_cndmask_b32_e32 v13, v13, v15, vcc
	v_xor_b32_e32 v11, v11, v10
	v_ashrrev_i32_e32 v12, 31, v6
	v_add_u32_e32 v15, 1, v14
	v_cmp_le_u32_e32 vcc, s37, v13
	v_sub_u32_e32 v10, v11, v10
	v_xor_b32_e32 v12, s38, v12
	v_cndmask_b32_e32 v13, v14, v15, vcc
	v_mul_lo_u32 v11, v10, s24
	v_xor_b32_e32 v13, v13, v12
	v_sub_u32_e32 v11, v11, v9
	v_sub_u32_e32 v12, v13, v12
	;; [unrolled: 1-line block ×3, first 2 shown]
	v_mul_lo_u32 v13, v12, s24
	v_add_u32_e32 v11, v11, v7
	v_mul_lo_u32 v10, v10, v10
	v_sub_u32_e32 v13, v13, v6
	v_mad_u64_u32 v[10:11], s[34:35], v11, v11, v[10:11]
	v_sub_u32_e32 v12, v1, v12
	v_add_u32_e32 v11, v13, v7
	v_mul_lo_u32 v12, v12, v12
	v_mad_u64_u32 v[12:13], s[34:35], v11, v11, v[12:13]
	v_cmp_lt_u32_e32 vcc, v10, v12
	v_cndmask_b32_e32 v6, v6, v9, vcc
.LBB0_5:
	s_or_b64 exec, exec, s[30:31]
	v_cmp_le_i32_e32 vcc, s26, v1
	s_and_saveexec_b64 s[30:31], vcc
	s_cbranch_execz .LBB0_9
; %bb.6:
	v_mov_b32_e32 v9, s1
	v_add_co_u32_e32 v10, vcc, s0, v4
	v_addc_co_u32_e32 v11, vcc, v9, v5, vcc
	global_load_dword v9, v[10:11], off
	s_waitcnt vmcnt(0)
	v_cmp_ne_u32_e32 vcc, s39, v9
	s_and_saveexec_b64 s[34:35], vcc
	s_cbranch_execz .LBB0_8
; %bb.7:
	v_sub_u32_e32 v11, 0, v9
	v_max_i32_e32 v11, v9, v11
	v_mul_hi_u32 v12, v11, v8
	v_mul_lo_u32 v13, v12, s37
	v_sub_u32_e32 v11, v11, v13
	v_add_u32_e32 v13, 1, v12
	v_cmp_le_u32_e32 vcc, s37, v11
	v_cndmask_b32_e32 v12, v12, v13, vcc
	v_subrev_u32_e32 v13, s37, v11
	v_cndmask_b32_e32 v11, v11, v13, vcc
	v_add_u32_e32 v13, 1, v12
	v_cmp_le_u32_e32 vcc, s37, v11
	v_cndmask_b32_e32 v11, v12, v13, vcc
	v_sub_u32_e32 v13, 0, v6
	v_max_i32_e32 v13, v6, v13
	v_mul_hi_u32 v14, v13, v8
	v_mul_lo_u32 v15, v14, s37
	v_sub_u32_e32 v13, v13, v15
	v_add_u32_e32 v15, 1, v14
	v_cmp_le_u32_e32 vcc, s37, v13
	v_ashrrev_i32_e32 v10, 31, v9
	v_cndmask_b32_e32 v14, v14, v15, vcc
	v_subrev_u32_e32 v15, s37, v13
	v_xor_b32_e32 v10, s38, v10
	v_cndmask_b32_e32 v13, v13, v15, vcc
	v_xor_b32_e32 v11, v11, v10
	v_ashrrev_i32_e32 v12, 31, v6
	v_add_u32_e32 v15, 1, v14
	v_cmp_le_u32_e32 vcc, s37, v13
	v_sub_u32_e32 v10, v11, v10
	v_xor_b32_e32 v12, s38, v12
	v_cndmask_b32_e32 v13, v14, v15, vcc
	v_mul_lo_u32 v11, v10, s24
	v_xor_b32_e32 v13, v13, v12
	v_sub_u32_e32 v11, v11, v9
	v_sub_u32_e32 v12, v13, v12
	;; [unrolled: 1-line block ×3, first 2 shown]
	v_mul_lo_u32 v13, v12, s24
	v_add_u32_e32 v11, v11, v7
	v_mul_lo_u32 v10, v10, v10
	v_sub_u32_e32 v13, v13, v6
	v_mad_u64_u32 v[10:11], s[40:41], v11, v11, v[10:11]
	v_sub_u32_e32 v12, v1, v12
	v_add_u32_e32 v11, v13, v7
	v_mul_lo_u32 v12, v12, v12
	v_mad_u64_u32 v[12:13], s[40:41], v11, v11, v[12:13]
	v_cmp_lt_u32_e32 vcc, v10, v12
	v_cndmask_b32_e32 v6, v6, v9, vcc
.LBB0_8:
	s_or_b64 exec, exec, s[34:35]
.LBB0_9:
	s_or_b64 exec, exec, s[30:31]
	v_add_u32_e32 v9, s26, v1
	v_cmp_gt_i32_e32 vcc, s25, v9
	s_and_saveexec_b64 s[30:31], vcc
	s_cbranch_execz .LBB0_13
; %bb.10:
	v_mov_b32_e32 v9, s23
	v_add_co_u32_e32 v10, vcc, s22, v4
	v_addc_co_u32_e32 v11, vcc, v9, v5, vcc
	global_load_dword v9, v[10:11], off
	s_waitcnt vmcnt(0)
	v_cmp_ne_u32_e32 vcc, s39, v9
	s_and_saveexec_b64 s[34:35], vcc
	s_cbranch_execz .LBB0_12
; %bb.11:
	v_sub_u32_e32 v11, 0, v9
	v_max_i32_e32 v11, v9, v11
	v_mul_hi_u32 v12, v11, v8
	v_mul_lo_u32 v13, v12, s37
	v_sub_u32_e32 v11, v11, v13
	v_add_u32_e32 v13, 1, v12
	v_cmp_le_u32_e32 vcc, s37, v11
	v_cndmask_b32_e32 v12, v12, v13, vcc
	v_subrev_u32_e32 v13, s37, v11
	v_cndmask_b32_e32 v11, v11, v13, vcc
	v_add_u32_e32 v13, 1, v12
	v_cmp_le_u32_e32 vcc, s37, v11
	v_cndmask_b32_e32 v11, v12, v13, vcc
	v_sub_u32_e32 v13, 0, v6
	v_max_i32_e32 v13, v6, v13
	v_mul_hi_u32 v14, v13, v8
	v_mul_lo_u32 v15, v14, s37
	v_sub_u32_e32 v13, v13, v15
	v_add_u32_e32 v15, 1, v14
	v_cmp_le_u32_e32 vcc, s37, v13
	v_ashrrev_i32_e32 v10, 31, v9
	v_cndmask_b32_e32 v14, v14, v15, vcc
	v_subrev_u32_e32 v15, s37, v13
	v_xor_b32_e32 v10, s38, v10
	v_cndmask_b32_e32 v13, v13, v15, vcc
	v_xor_b32_e32 v11, v11, v10
	v_ashrrev_i32_e32 v12, 31, v6
	v_add_u32_e32 v15, 1, v14
	v_cmp_le_u32_e32 vcc, s37, v13
	v_sub_u32_e32 v10, v11, v10
	v_xor_b32_e32 v12, s38, v12
	v_cndmask_b32_e32 v13, v14, v15, vcc
	v_mul_lo_u32 v11, v10, s24
	v_xor_b32_e32 v13, v13, v12
	v_sub_u32_e32 v11, v11, v9
	v_sub_u32_e32 v12, v13, v12
	;; [unrolled: 1-line block ×3, first 2 shown]
	v_mul_lo_u32 v13, v12, s24
	v_add_u32_e32 v11, v11, v7
	v_mul_lo_u32 v10, v10, v10
	v_sub_u32_e32 v13, v13, v6
	v_mad_u64_u32 v[10:11], s[40:41], v11, v11, v[10:11]
	v_sub_u32_e32 v12, v1, v12
	v_add_u32_e32 v11, v13, v7
	v_mul_lo_u32 v12, v12, v12
	v_mad_u64_u32 v[12:13], s[40:41], v11, v11, v[12:13]
	v_cmp_lt_u32_e32 vcc, v10, v12
	v_cndmask_b32_e32 v6, v6, v9, vcc
.LBB0_12:
	s_or_b64 exec, exec, s[34:35]
.LBB0_13:
	s_or_b64 exec, exec, s[30:31]
.LBB0_14:
	s_or_b64 exec, exec, s[28:29]
	v_add_u32_e32 v9, s26, v7
	v_cmp_gt_i32_e32 vcc, s24, v9
	s_and_saveexec_b64 s[28:29], vcc
	s_cbranch_execz .LBB0_26
; %bb.15:
	v_mov_b32_e32 v9, s11
	v_add_co_u32_e32 v10, vcc, s10, v4
	v_addc_co_u32_e32 v11, vcc, v9, v5, vcc
	global_load_dword v9, v[10:11], off
	s_mul_i32 s39, s25, s24
	s_waitcnt vmcnt(0)
	v_cmp_ne_u32_e32 vcc, s39, v9
	s_and_saveexec_b64 s[30:31], vcc
	s_cbranch_execz .LBB0_17
; %bb.16:
	v_sub_u32_e32 v11, 0, v9
	v_max_i32_e32 v11, v9, v11
	v_mul_hi_u32 v12, v11, v8
	v_mul_lo_u32 v13, v12, s37
	v_sub_u32_e32 v11, v11, v13
	v_add_u32_e32 v13, 1, v12
	v_cmp_le_u32_e32 vcc, s37, v11
	v_cndmask_b32_e32 v12, v12, v13, vcc
	v_subrev_u32_e32 v13, s37, v11
	v_cndmask_b32_e32 v11, v11, v13, vcc
	v_add_u32_e32 v13, 1, v12
	v_cmp_le_u32_e32 vcc, s37, v11
	v_cndmask_b32_e32 v11, v12, v13, vcc
	v_sub_u32_e32 v13, 0, v6
	v_max_i32_e32 v13, v6, v13
	v_mul_hi_u32 v14, v13, v8
	v_mul_lo_u32 v15, v14, s37
	v_sub_u32_e32 v13, v13, v15
	v_add_u32_e32 v15, 1, v14
	v_cmp_le_u32_e32 vcc, s37, v13
	v_ashrrev_i32_e32 v10, 31, v9
	v_cndmask_b32_e32 v14, v14, v15, vcc
	v_subrev_u32_e32 v15, s37, v13
	v_xor_b32_e32 v10, s38, v10
	v_cndmask_b32_e32 v13, v13, v15, vcc
	v_xor_b32_e32 v11, v11, v10
	v_ashrrev_i32_e32 v12, 31, v6
	v_add_u32_e32 v15, 1, v14
	v_cmp_le_u32_e32 vcc, s37, v13
	v_sub_u32_e32 v10, v11, v10
	v_xor_b32_e32 v12, s38, v12
	v_cndmask_b32_e32 v13, v14, v15, vcc
	v_mul_lo_u32 v11, v10, s24
	v_xor_b32_e32 v13, v13, v12
	v_sub_u32_e32 v11, v11, v9
	v_sub_u32_e32 v12, v13, v12
	;; [unrolled: 1-line block ×3, first 2 shown]
	v_mul_lo_u32 v13, v12, s24
	v_add_u32_e32 v11, v11, v7
	v_mul_lo_u32 v10, v10, v10
	v_sub_u32_e32 v13, v13, v6
	v_mad_u64_u32 v[10:11], s[34:35], v11, v11, v[10:11]
	v_sub_u32_e32 v12, v1, v12
	v_add_u32_e32 v11, v13, v7
	v_mul_lo_u32 v12, v12, v12
	v_mad_u64_u32 v[12:13], s[34:35], v11, v11, v[12:13]
	v_cmp_lt_u32_e32 vcc, v10, v12
	v_cndmask_b32_e32 v6, v6, v9, vcc
.LBB0_17:
	s_or_b64 exec, exec, s[30:31]
	v_cmp_le_i32_e32 vcc, s26, v1
	s_and_saveexec_b64 s[30:31], vcc
	s_cbranch_execz .LBB0_21
; %bb.18:
	v_mov_b32_e32 v9, s21
	v_add_co_u32_e32 v10, vcc, s20, v4
	v_addc_co_u32_e32 v11, vcc, v9, v5, vcc
	global_load_dword v9, v[10:11], off
	s_waitcnt vmcnt(0)
	v_cmp_ne_u32_e32 vcc, s39, v9
	s_and_saveexec_b64 s[34:35], vcc
	s_cbranch_execz .LBB0_20
; %bb.19:
	v_sub_u32_e32 v11, 0, v9
	v_max_i32_e32 v11, v9, v11
	v_mul_hi_u32 v12, v11, v8
	v_mul_lo_u32 v13, v12, s37
	v_sub_u32_e32 v11, v11, v13
	v_add_u32_e32 v13, 1, v12
	v_cmp_le_u32_e32 vcc, s37, v11
	v_cndmask_b32_e32 v12, v12, v13, vcc
	v_subrev_u32_e32 v13, s37, v11
	v_cndmask_b32_e32 v11, v11, v13, vcc
	v_add_u32_e32 v13, 1, v12
	v_cmp_le_u32_e32 vcc, s37, v11
	v_cndmask_b32_e32 v11, v12, v13, vcc
	v_sub_u32_e32 v13, 0, v6
	v_max_i32_e32 v13, v6, v13
	v_mul_hi_u32 v14, v13, v8
	v_mul_lo_u32 v15, v14, s37
	v_sub_u32_e32 v13, v13, v15
	v_add_u32_e32 v15, 1, v14
	v_cmp_le_u32_e32 vcc, s37, v13
	v_ashrrev_i32_e32 v10, 31, v9
	v_cndmask_b32_e32 v14, v14, v15, vcc
	v_subrev_u32_e32 v15, s37, v13
	v_xor_b32_e32 v10, s38, v10
	v_cndmask_b32_e32 v13, v13, v15, vcc
	v_xor_b32_e32 v11, v11, v10
	v_ashrrev_i32_e32 v12, 31, v6
	v_add_u32_e32 v15, 1, v14
	v_cmp_le_u32_e32 vcc, s37, v13
	v_sub_u32_e32 v10, v11, v10
	v_xor_b32_e32 v12, s38, v12
	v_cndmask_b32_e32 v13, v14, v15, vcc
	v_mul_lo_u32 v11, v10, s24
	v_xor_b32_e32 v13, v13, v12
	v_sub_u32_e32 v11, v11, v9
	v_sub_u32_e32 v12, v13, v12
	;; [unrolled: 1-line block ×3, first 2 shown]
	v_mul_lo_u32 v13, v12, s24
	v_add_u32_e32 v11, v11, v7
	v_mul_lo_u32 v10, v10, v10
	v_sub_u32_e32 v13, v13, v6
	v_mad_u64_u32 v[10:11], s[40:41], v11, v11, v[10:11]
	v_sub_u32_e32 v12, v1, v12
	v_add_u32_e32 v11, v13, v7
	v_mul_lo_u32 v12, v12, v12
	v_mad_u64_u32 v[12:13], s[40:41], v11, v11, v[12:13]
	v_cmp_lt_u32_e32 vcc, v10, v12
	v_cndmask_b32_e32 v6, v6, v9, vcc
.LBB0_20:
	s_or_b64 exec, exec, s[34:35]
.LBB0_21:
	s_or_b64 exec, exec, s[30:31]
	v_add_u32_e32 v9, s26, v1
	v_cmp_gt_i32_e32 vcc, s25, v9
	s_and_saveexec_b64 s[30:31], vcc
	s_cbranch_execz .LBB0_25
; %bb.22:
	v_mov_b32_e32 v9, s19
	v_add_co_u32_e32 v10, vcc, s18, v4
	v_addc_co_u32_e32 v11, vcc, v9, v5, vcc
	global_load_dword v9, v[10:11], off
	s_waitcnt vmcnt(0)
	v_cmp_ne_u32_e32 vcc, s39, v9
	s_and_saveexec_b64 s[34:35], vcc
	s_cbranch_execz .LBB0_24
; %bb.23:
	v_sub_u32_e32 v11, 0, v9
	v_max_i32_e32 v11, v9, v11
	v_mul_hi_u32 v12, v11, v8
	v_mul_lo_u32 v13, v12, s37
	v_sub_u32_e32 v11, v11, v13
	v_add_u32_e32 v13, 1, v12
	v_cmp_le_u32_e32 vcc, s37, v11
	v_cndmask_b32_e32 v12, v12, v13, vcc
	v_subrev_u32_e32 v13, s37, v11
	v_cndmask_b32_e32 v11, v11, v13, vcc
	v_add_u32_e32 v13, 1, v12
	v_cmp_le_u32_e32 vcc, s37, v11
	v_cndmask_b32_e32 v11, v12, v13, vcc
	v_sub_u32_e32 v13, 0, v6
	v_max_i32_e32 v13, v6, v13
	v_mul_hi_u32 v14, v13, v8
	v_mul_lo_u32 v15, v14, s37
	v_sub_u32_e32 v13, v13, v15
	v_add_u32_e32 v15, 1, v14
	v_cmp_le_u32_e32 vcc, s37, v13
	v_ashrrev_i32_e32 v10, 31, v9
	v_cndmask_b32_e32 v14, v14, v15, vcc
	v_subrev_u32_e32 v15, s37, v13
	v_xor_b32_e32 v10, s38, v10
	v_cndmask_b32_e32 v13, v13, v15, vcc
	v_xor_b32_e32 v11, v11, v10
	v_ashrrev_i32_e32 v12, 31, v6
	v_add_u32_e32 v15, 1, v14
	v_cmp_le_u32_e32 vcc, s37, v13
	v_sub_u32_e32 v10, v11, v10
	v_xor_b32_e32 v12, s38, v12
	v_cndmask_b32_e32 v13, v14, v15, vcc
	v_mul_lo_u32 v11, v10, s24
	v_xor_b32_e32 v13, v13, v12
	v_sub_u32_e32 v11, v11, v9
	v_sub_u32_e32 v12, v13, v12
	v_sub_u32_e32 v10, v1, v10
	v_mul_lo_u32 v13, v12, s24
	v_add_u32_e32 v11, v11, v7
	v_mul_lo_u32 v10, v10, v10
	v_sub_u32_e32 v13, v13, v6
	v_mad_u64_u32 v[10:11], s[40:41], v11, v11, v[10:11]
	v_sub_u32_e32 v12, v1, v12
	v_add_u32_e32 v11, v13, v7
	v_mul_lo_u32 v12, v12, v12
	v_mad_u64_u32 v[12:13], s[40:41], v11, v11, v[12:13]
	v_cmp_lt_u32_e32 vcc, v10, v12
	v_cndmask_b32_e32 v6, v6, v9, vcc
.LBB0_24:
	s_or_b64 exec, exec, s[34:35]
.LBB0_25:
	s_or_b64 exec, exec, s[30:31]
.LBB0_26:
	s_or_b64 exec, exec, s[28:29]
	v_cmp_le_i32_e32 vcc, s26, v1
	s_and_saveexec_b64 s[28:29], vcc
	s_cbranch_execz .LBB0_30
; %bb.27:
	v_mov_b32_e32 v9, s17
	v_add_co_u32_e32 v10, vcc, s16, v4
	v_addc_co_u32_e32 v11, vcc, v9, v5, vcc
	global_load_dword v9, v[10:11], off
	s_mul_i32 s30, s25, s24
	s_waitcnt vmcnt(0)
	v_cmp_ne_u32_e32 vcc, s30, v9
	s_and_saveexec_b64 s[30:31], vcc
	s_cbranch_execz .LBB0_29
; %bb.28:
	v_sub_u32_e32 v11, 0, v9
	v_max_i32_e32 v11, v9, v11
	v_mul_hi_u32 v12, v11, v8
	v_mul_lo_u32 v13, v12, s37
	v_sub_u32_e32 v11, v11, v13
	v_add_u32_e32 v13, 1, v12
	v_cmp_le_u32_e32 vcc, s37, v11
	v_cndmask_b32_e32 v12, v12, v13, vcc
	v_subrev_u32_e32 v13, s37, v11
	v_cndmask_b32_e32 v11, v11, v13, vcc
	v_add_u32_e32 v13, 1, v12
	v_cmp_le_u32_e32 vcc, s37, v11
	v_cndmask_b32_e32 v11, v12, v13, vcc
	v_sub_u32_e32 v13, 0, v6
	v_max_i32_e32 v13, v6, v13
	v_mul_hi_u32 v14, v13, v8
	v_mul_lo_u32 v15, v14, s37
	v_sub_u32_e32 v13, v13, v15
	v_add_u32_e32 v15, 1, v14
	v_cmp_le_u32_e32 vcc, s37, v13
	v_ashrrev_i32_e32 v10, 31, v9
	v_cndmask_b32_e32 v14, v14, v15, vcc
	v_subrev_u32_e32 v15, s37, v13
	v_xor_b32_e32 v10, s38, v10
	v_cndmask_b32_e32 v13, v13, v15, vcc
	v_xor_b32_e32 v11, v11, v10
	v_ashrrev_i32_e32 v12, 31, v6
	v_add_u32_e32 v15, 1, v14
	v_cmp_le_u32_e32 vcc, s37, v13
	v_sub_u32_e32 v10, v11, v10
	v_xor_b32_e32 v12, s38, v12
	v_cndmask_b32_e32 v13, v14, v15, vcc
	v_mul_lo_u32 v11, v10, s24
	v_xor_b32_e32 v13, v13, v12
	v_sub_u32_e32 v11, v11, v9
	v_sub_u32_e32 v12, v13, v12
	;; [unrolled: 1-line block ×3, first 2 shown]
	v_mul_lo_u32 v13, v12, s24
	v_add_u32_e32 v11, v11, v7
	v_mul_lo_u32 v10, v10, v10
	v_sub_u32_e32 v13, v13, v6
	v_mad_u64_u32 v[10:11], s[34:35], v11, v11, v[10:11]
	v_sub_u32_e32 v12, v1, v12
	v_add_u32_e32 v11, v13, v7
	v_mul_lo_u32 v12, v12, v12
	v_mad_u64_u32 v[12:13], s[34:35], v11, v11, v[12:13]
	v_cmp_lt_u32_e32 vcc, v10, v12
	v_cndmask_b32_e32 v6, v6, v9, vcc
.LBB0_29:
	s_or_b64 exec, exec, s[30:31]
.LBB0_30:
	s_or_b64 exec, exec, s[28:29]
	v_add_u32_e32 v9, s26, v1
	v_cmp_gt_i32_e32 vcc, s25, v9
	s_and_saveexec_b64 s[28:29], vcc
	s_cbranch_execz .LBB0_34
; %bb.31:
	v_mov_b32_e32 v9, s13
	v_add_co_u32_e32 v4, vcc, s12, v4
	v_addc_co_u32_e32 v5, vcc, v9, v5, vcc
	global_load_dword v4, v[4:5], off
	s_mul_i32 s30, s25, s24
	s_waitcnt vmcnt(0)
	v_cmp_ne_u32_e32 vcc, s30, v4
	s_and_saveexec_b64 s[30:31], vcc
	s_cbranch_execz .LBB0_33
; %bb.32:
	v_sub_u32_e32 v9, 0, v4
	v_max_i32_e32 v9, v4, v9
	v_mul_hi_u32 v10, v9, v8
	v_mul_lo_u32 v11, v10, s37
	v_sub_u32_e32 v9, v9, v11
	v_add_u32_e32 v11, 1, v10
	v_cmp_le_u32_e32 vcc, s37, v9
	v_cndmask_b32_e32 v10, v10, v11, vcc
	v_subrev_u32_e32 v11, s37, v9
	v_cndmask_b32_e32 v9, v9, v11, vcc
	v_add_u32_e32 v11, 1, v10
	v_cmp_le_u32_e32 vcc, s37, v9
	v_cndmask_b32_e32 v9, v10, v11, vcc
	v_sub_u32_e32 v11, 0, v6
	v_max_i32_e32 v11, v6, v11
	v_mul_hi_u32 v8, v11, v8
	v_mul_lo_u32 v12, v8, s37
	v_sub_u32_e32 v11, v11, v12
	v_add_u32_e32 v12, 1, v8
	v_cmp_le_u32_e32 vcc, s37, v11
	v_cndmask_b32_e32 v8, v8, v12, vcc
	v_subrev_u32_e32 v12, s37, v11
	v_cndmask_b32_e32 v11, v11, v12, vcc
	v_ashrrev_i32_e32 v5, 31, v4
	v_ashrrev_i32_e32 v10, 31, v6
	v_add_u32_e32 v12, 1, v8
	v_cmp_le_u32_e32 vcc, s37, v11
	v_xor_b32_e32 v5, s38, v5
	v_xor_b32_e32 v10, s38, v10
	v_cndmask_b32_e32 v8, v8, v12, vcc
	v_xor_b32_e32 v9, v9, v5
	v_xor_b32_e32 v8, v8, v10
	v_sub_u32_e32 v5, v9, v5
	v_sub_u32_e32 v10, v8, v10
	v_mul_lo_u32 v9, v5, s24
	v_mul_lo_u32 v8, v10, s24
	v_sub_u32_e32 v9, v9, v4
	v_sub_u32_e32 v11, v8, v6
	;; [unrolled: 1-line block ×4, first 2 shown]
	v_add_u32_e32 v9, v9, v7
	v_mul_lo_u32 v8, v5, v5
	v_add_u32_e32 v5, v11, v7
	v_mul_lo_u32 v10, v1, v1
	v_mad_u64_u32 v[8:9], s[34:35], v9, v9, v[8:9]
	v_mad_u64_u32 v[10:11], s[34:35], v5, v5, v[10:11]
	v_cmp_lt_u32_e32 vcc, v8, v10
	v_cndmask_b32_e32 v6, v6, v4, vcc
.LBB0_33:
	s_or_b64 exec, exec, s[30:31]
.LBB0_34:
	s_or_b64 exec, exec, s[28:29]
	s_mov_b64 s[28:29], exec
	s_or_b64 exec, exec, s[6:7]
	s_and_b64 vcc, exec, s[2:3]
	s_cbranch_vccnz .LBB0_37
	s_branch .LBB0_70
.LBB0_35:
	s_mov_b64 s[28:29], 0
                                        ; implicit-def: $vgpr6
                                        ; implicit-def: $vgpr2_vgpr3
	s_cbranch_execnz .LBB0_37
	s_branch .LBB0_70
.LBB0_36:
	s_or_b64 exec, exec, s[6:7]
	s_and_b64 vcc, exec, s[2:3]
	s_cbranch_vccz .LBB0_70
.LBB0_37:
	v_mov_b32_e32 v1, s36
	v_add_co_u32_e32 v2, vcc, s33, v0
	v_addc_co_u32_e32 v3, vcc, 0, v1, vcc
	v_lshlrev_b64 v[0:1], 2, v[2:3]
	v_mov_b32_e32 v5, s9
	v_add_co_u32_e32 v4, vcc, s8, v0
	v_addc_co_u32_e32 v5, vcc, v5, v1, vcc
	global_load_dword v6, v[4:5], off
	s_abs_i32 s8, s24
	v_cvt_f32_u32_e32 v4, s8
	s_waitcnt lgkmcnt(0)
	v_add_u32_e32 v5, s27, v2
	v_ashrrev_i32_e32 v7, 31, v5
	s_ashr_i32 s9, s24, 31
	v_rcp_iflag_f32_e32 v4, v4
	v_xor_b32_e32 v8, s9, v7
	v_sub_u32_e32 v7, 0, v5
	s_sub_i32 s2, 0, s8
	v_mul_f32_e32 v4, 0x4f7ffffe, v4
	v_cvt_u32_f32_e32 v4, v4
	v_max_i32_e32 v9, v5, v7
	s_mul_i32 s27, s25, s24
	v_mul_lo_u32 v7, s2, v4
	v_mul_hi_u32 v7, v4, v7
	v_add_u32_e32 v7, v4, v7
	v_mul_hi_u32 v4, v9, v7
	v_mul_lo_u32 v10, v4, s8
	v_sub_u32_e32 v9, v9, v10
	v_add_u32_e32 v10, 1, v4
	v_cmp_le_u32_e32 vcc, s8, v9
	v_cndmask_b32_e32 v4, v4, v10, vcc
	v_subrev_u32_e32 v10, s8, v9
	v_cndmask_b32_e32 v9, v9, v10, vcc
	v_add_u32_e32 v10, 1, v4
	v_cmp_le_u32_e32 vcc, s8, v9
	v_cndmask_b32_e32 v4, v4, v10, vcc
	v_xor_b32_e32 v4, v4, v8
	v_sub_u32_e32 v4, v4, v8
	v_mul_lo_u32 v8, v4, s24
	v_sub_u32_e32 v5, v5, v8
	v_cmp_le_i32_e32 vcc, s26, v5
	s_and_saveexec_b64 s[2:3], vcc
	s_cbranch_execz .LBB0_49
; %bb.38:
	v_mov_b32_e32 v9, s15
	v_add_co_u32_e32 v8, vcc, s14, v0
	v_addc_co_u32_e32 v9, vcc, v9, v1, vcc
	global_load_dword v8, v[8:9], off
	s_waitcnt vmcnt(0)
	v_cmp_ne_u32_e32 vcc, s27, v8
	s_and_saveexec_b64 s[6:7], vcc
	s_cbranch_execz .LBB0_40
; %bb.39:
	v_sub_u32_e32 v10, 0, v8
	v_max_i32_e32 v10, v8, v10
	v_mul_hi_u32 v11, v10, v7
	v_mul_lo_u32 v12, v11, s8
	v_sub_u32_e32 v10, v10, v12
	v_add_u32_e32 v12, 1, v11
	v_cmp_le_u32_e32 vcc, s8, v10
	v_cndmask_b32_e32 v11, v11, v12, vcc
	v_subrev_u32_e32 v12, s8, v10
	v_cndmask_b32_e32 v10, v10, v12, vcc
	v_add_u32_e32 v12, 1, v11
	v_cmp_le_u32_e32 vcc, s8, v10
	v_cndmask_b32_e32 v10, v11, v12, vcc
	v_sub_u32_e32 v12, 0, v6
	v_max_i32_e32 v12, v6, v12
	v_mul_hi_u32 v13, v12, v7
	v_mul_lo_u32 v14, v13, s8
	v_sub_u32_e32 v12, v12, v14
	v_add_u32_e32 v14, 1, v13
	v_cmp_le_u32_e32 vcc, s8, v12
	v_cndmask_b32_e32 v13, v13, v14, vcc
	v_subrev_u32_e32 v14, s8, v12
	v_ashrrev_i32_e32 v9, 31, v8
	v_cndmask_b32_e32 v12, v12, v14, vcc
	v_xor_b32_e32 v9, s9, v9
	v_ashrrev_i32_e32 v11, 31, v6
	v_add_u32_e32 v14, 1, v13
	v_cmp_le_u32_e32 vcc, s8, v12
	v_xor_b32_e32 v10, v10, v9
	v_xor_b32_e32 v11, s9, v11
	v_cndmask_b32_e32 v12, v13, v14, vcc
	v_sub_u32_e32 v9, v10, v9
	v_xor_b32_e32 v12, v12, v11
	v_mul_lo_u32 v10, v9, s24
	v_sub_u32_e32 v12, v12, v11
	v_sub_u32_e32 v10, v10, v8
	v_mul_lo_u32 v11, v12, s24
	v_sub_u32_e32 v9, v4, v9
	v_sub_u32_e32 v13, v11, v6
	v_add_u32_e32 v11, v10, v5
	v_mul_lo_u32 v10, v9, v9
	v_mad_u64_u32 v[10:11], s[14:15], v11, v11, v[10:11]
	v_sub_u32_e32 v11, v4, v12
	v_add_u32_e32 v9, v13, v5
	v_mul_lo_u32 v12, v11, v11
	v_mad_u64_u32 v[12:13], s[14:15], v9, v9, v[12:13]
	v_cmp_lt_u32_e32 vcc, v10, v12
	v_cndmask_b32_e32 v6, v6, v8, vcc
.LBB0_40:
	s_or_b64 exec, exec, s[6:7]
	v_cmp_le_i32_e32 vcc, s26, v4
	s_and_saveexec_b64 s[6:7], vcc
	s_cbranch_execz .LBB0_44
; %bb.41:
	v_mov_b32_e32 v9, s1
	v_add_co_u32_e32 v8, vcc, s0, v0
	v_addc_co_u32_e32 v9, vcc, v9, v1, vcc
	global_load_dword v8, v[8:9], off
	s_waitcnt vmcnt(0)
	v_cmp_ne_u32_e32 vcc, s27, v8
	s_and_saveexec_b64 s[0:1], vcc
	s_cbranch_execz .LBB0_43
; %bb.42:
	v_sub_u32_e32 v10, 0, v8
	v_max_i32_e32 v10, v8, v10
	v_mul_hi_u32 v11, v10, v7
	v_mul_lo_u32 v12, v11, s8
	v_sub_u32_e32 v10, v10, v12
	v_add_u32_e32 v12, 1, v11
	v_cmp_le_u32_e32 vcc, s8, v10
	v_cndmask_b32_e32 v11, v11, v12, vcc
	v_subrev_u32_e32 v12, s8, v10
	v_cndmask_b32_e32 v10, v10, v12, vcc
	v_add_u32_e32 v12, 1, v11
	v_cmp_le_u32_e32 vcc, s8, v10
	v_cndmask_b32_e32 v10, v11, v12, vcc
	v_sub_u32_e32 v12, 0, v6
	v_max_i32_e32 v12, v6, v12
	v_mul_hi_u32 v13, v12, v7
	v_mul_lo_u32 v14, v13, s8
	v_sub_u32_e32 v12, v12, v14
	v_add_u32_e32 v14, 1, v13
	v_cmp_le_u32_e32 vcc, s8, v12
	v_cndmask_b32_e32 v13, v13, v14, vcc
	v_subrev_u32_e32 v14, s8, v12
	v_ashrrev_i32_e32 v9, 31, v8
	v_cndmask_b32_e32 v12, v12, v14, vcc
	v_xor_b32_e32 v9, s9, v9
	v_ashrrev_i32_e32 v11, 31, v6
	v_add_u32_e32 v14, 1, v13
	v_cmp_le_u32_e32 vcc, s8, v12
	v_xor_b32_e32 v10, v10, v9
	v_xor_b32_e32 v11, s9, v11
	v_cndmask_b32_e32 v12, v13, v14, vcc
	v_sub_u32_e32 v9, v10, v9
	v_xor_b32_e32 v12, v12, v11
	v_mul_lo_u32 v10, v9, s24
	v_sub_u32_e32 v12, v12, v11
	v_sub_u32_e32 v10, v10, v8
	v_mul_lo_u32 v11, v12, s24
	v_sub_u32_e32 v9, v4, v9
	v_sub_u32_e32 v13, v11, v6
	v_add_u32_e32 v11, v10, v5
	v_mul_lo_u32 v10, v9, v9
	v_mad_u64_u32 v[10:11], s[14:15], v11, v11, v[10:11]
	v_sub_u32_e32 v11, v4, v12
	v_add_u32_e32 v9, v13, v5
	v_mul_lo_u32 v12, v11, v11
	v_mad_u64_u32 v[12:13], s[14:15], v9, v9, v[12:13]
	v_cmp_lt_u32_e32 vcc, v10, v12
	v_cndmask_b32_e32 v6, v6, v8, vcc
.LBB0_43:
	s_or_b64 exec, exec, s[0:1]
.LBB0_44:
	s_or_b64 exec, exec, s[6:7]
	v_add_u32_e32 v8, s26, v4
	v_cmp_gt_i32_e32 vcc, s25, v8
	s_and_saveexec_b64 s[0:1], vcc
	s_cbranch_execz .LBB0_48
; %bb.45:
	v_mov_b32_e32 v9, s23
	v_add_co_u32_e32 v8, vcc, s22, v0
	v_addc_co_u32_e32 v9, vcc, v9, v1, vcc
	global_load_dword v8, v[8:9], off
	s_waitcnt vmcnt(0)
	v_cmp_ne_u32_e32 vcc, s27, v8
	s_and_saveexec_b64 s[6:7], vcc
	s_cbranch_execz .LBB0_47
; %bb.46:
	v_sub_u32_e32 v10, 0, v8
	v_max_i32_e32 v10, v8, v10
	v_mul_hi_u32 v11, v10, v7
	v_mul_lo_u32 v12, v11, s8
	v_sub_u32_e32 v10, v10, v12
	v_add_u32_e32 v12, 1, v11
	v_cmp_le_u32_e32 vcc, s8, v10
	v_cndmask_b32_e32 v11, v11, v12, vcc
	v_subrev_u32_e32 v12, s8, v10
	v_cndmask_b32_e32 v10, v10, v12, vcc
	v_add_u32_e32 v12, 1, v11
	v_cmp_le_u32_e32 vcc, s8, v10
	v_cndmask_b32_e32 v10, v11, v12, vcc
	v_sub_u32_e32 v12, 0, v6
	v_max_i32_e32 v12, v6, v12
	v_mul_hi_u32 v13, v12, v7
	v_mul_lo_u32 v14, v13, s8
	v_sub_u32_e32 v12, v12, v14
	v_add_u32_e32 v14, 1, v13
	v_cmp_le_u32_e32 vcc, s8, v12
	v_cndmask_b32_e32 v13, v13, v14, vcc
	v_subrev_u32_e32 v14, s8, v12
	v_ashrrev_i32_e32 v9, 31, v8
	v_cndmask_b32_e32 v12, v12, v14, vcc
	v_xor_b32_e32 v9, s9, v9
	v_ashrrev_i32_e32 v11, 31, v6
	v_add_u32_e32 v14, 1, v13
	v_cmp_le_u32_e32 vcc, s8, v12
	v_xor_b32_e32 v10, v10, v9
	v_xor_b32_e32 v11, s9, v11
	v_cndmask_b32_e32 v12, v13, v14, vcc
	v_sub_u32_e32 v9, v10, v9
	v_xor_b32_e32 v12, v12, v11
	v_mul_lo_u32 v10, v9, s24
	v_sub_u32_e32 v12, v12, v11
	v_sub_u32_e32 v10, v10, v8
	v_mul_lo_u32 v11, v12, s24
	v_sub_u32_e32 v9, v4, v9
	v_sub_u32_e32 v13, v11, v6
	v_add_u32_e32 v11, v10, v5
	v_mul_lo_u32 v10, v9, v9
	v_mad_u64_u32 v[10:11], s[14:15], v11, v11, v[10:11]
	v_sub_u32_e32 v11, v4, v12
	v_add_u32_e32 v9, v13, v5
	v_mul_lo_u32 v12, v11, v11
	v_mad_u64_u32 v[12:13], s[14:15], v9, v9, v[12:13]
	v_cmp_lt_u32_e32 vcc, v10, v12
	v_cndmask_b32_e32 v6, v6, v8, vcc
.LBB0_47:
	s_or_b64 exec, exec, s[6:7]
.LBB0_48:
	s_or_b64 exec, exec, s[0:1]
.LBB0_49:
	s_or_b64 exec, exec, s[2:3]
	v_add_u32_e32 v8, s26, v5
	v_cmp_gt_i32_e32 vcc, s24, v8
	s_and_saveexec_b64 s[0:1], vcc
	s_cbranch_execz .LBB0_61
; %bb.50:
	v_mov_b32_e32 v9, s11
	v_add_co_u32_e32 v8, vcc, s10, v0
	v_addc_co_u32_e32 v9, vcc, v9, v1, vcc
	global_load_dword v8, v[8:9], off
	s_waitcnt vmcnt(0)
	v_cmp_ne_u32_e32 vcc, s27, v8
	s_and_saveexec_b64 s[2:3], vcc
	s_cbranch_execz .LBB0_52
; %bb.51:
	v_sub_u32_e32 v10, 0, v8
	v_max_i32_e32 v10, v8, v10
	v_mul_hi_u32 v11, v10, v7
	v_mul_lo_u32 v12, v11, s8
	v_sub_u32_e32 v10, v10, v12
	v_add_u32_e32 v12, 1, v11
	v_cmp_le_u32_e32 vcc, s8, v10
	v_cndmask_b32_e32 v11, v11, v12, vcc
	v_subrev_u32_e32 v12, s8, v10
	v_cndmask_b32_e32 v10, v10, v12, vcc
	v_add_u32_e32 v12, 1, v11
	v_cmp_le_u32_e32 vcc, s8, v10
	v_cndmask_b32_e32 v10, v11, v12, vcc
	v_sub_u32_e32 v12, 0, v6
	v_max_i32_e32 v12, v6, v12
	v_mul_hi_u32 v13, v12, v7
	v_mul_lo_u32 v14, v13, s8
	v_sub_u32_e32 v12, v12, v14
	v_add_u32_e32 v14, 1, v13
	v_cmp_le_u32_e32 vcc, s8, v12
	v_cndmask_b32_e32 v13, v13, v14, vcc
	v_subrev_u32_e32 v14, s8, v12
	v_ashrrev_i32_e32 v9, 31, v8
	v_cndmask_b32_e32 v12, v12, v14, vcc
	v_xor_b32_e32 v9, s9, v9
	v_ashrrev_i32_e32 v11, 31, v6
	v_add_u32_e32 v14, 1, v13
	v_cmp_le_u32_e32 vcc, s8, v12
	v_xor_b32_e32 v10, v10, v9
	v_xor_b32_e32 v11, s9, v11
	v_cndmask_b32_e32 v12, v13, v14, vcc
	v_sub_u32_e32 v9, v10, v9
	v_xor_b32_e32 v12, v12, v11
	v_mul_lo_u32 v10, v9, s24
	v_sub_u32_e32 v12, v12, v11
	v_sub_u32_e32 v10, v10, v8
	v_mul_lo_u32 v11, v12, s24
	v_sub_u32_e32 v9, v4, v9
	v_sub_u32_e32 v13, v11, v6
	v_add_u32_e32 v11, v10, v5
	v_mul_lo_u32 v10, v9, v9
	v_mad_u64_u32 v[10:11], s[6:7], v11, v11, v[10:11]
	v_sub_u32_e32 v11, v4, v12
	v_add_u32_e32 v9, v13, v5
	v_mul_lo_u32 v12, v11, v11
	v_mad_u64_u32 v[12:13], s[6:7], v9, v9, v[12:13]
	v_cmp_lt_u32_e32 vcc, v10, v12
	v_cndmask_b32_e32 v6, v6, v8, vcc
.LBB0_52:
	s_or_b64 exec, exec, s[2:3]
	v_cmp_le_i32_e32 vcc, s26, v4
	s_and_saveexec_b64 s[2:3], vcc
	s_cbranch_execz .LBB0_56
; %bb.53:
	v_mov_b32_e32 v9, s21
	v_add_co_u32_e32 v8, vcc, s20, v0
	v_addc_co_u32_e32 v9, vcc, v9, v1, vcc
	global_load_dword v8, v[8:9], off
	s_waitcnt vmcnt(0)
	v_cmp_ne_u32_e32 vcc, s27, v8
	s_and_saveexec_b64 s[6:7], vcc
	s_cbranch_execz .LBB0_55
; %bb.54:
	v_sub_u32_e32 v10, 0, v8
	v_max_i32_e32 v10, v8, v10
	v_mul_hi_u32 v11, v10, v7
	v_mul_lo_u32 v12, v11, s8
	v_sub_u32_e32 v10, v10, v12
	v_add_u32_e32 v12, 1, v11
	v_cmp_le_u32_e32 vcc, s8, v10
	v_cndmask_b32_e32 v11, v11, v12, vcc
	v_subrev_u32_e32 v12, s8, v10
	v_cndmask_b32_e32 v10, v10, v12, vcc
	v_add_u32_e32 v12, 1, v11
	v_cmp_le_u32_e32 vcc, s8, v10
	v_cndmask_b32_e32 v10, v11, v12, vcc
	v_sub_u32_e32 v12, 0, v6
	v_max_i32_e32 v12, v6, v12
	v_mul_hi_u32 v13, v12, v7
	v_mul_lo_u32 v14, v13, s8
	v_sub_u32_e32 v12, v12, v14
	v_add_u32_e32 v14, 1, v13
	v_cmp_le_u32_e32 vcc, s8, v12
	v_cndmask_b32_e32 v13, v13, v14, vcc
	v_subrev_u32_e32 v14, s8, v12
	v_ashrrev_i32_e32 v9, 31, v8
	v_cndmask_b32_e32 v12, v12, v14, vcc
	v_xor_b32_e32 v9, s9, v9
	v_ashrrev_i32_e32 v11, 31, v6
	v_add_u32_e32 v14, 1, v13
	v_cmp_le_u32_e32 vcc, s8, v12
	v_xor_b32_e32 v10, v10, v9
	v_xor_b32_e32 v11, s9, v11
	v_cndmask_b32_e32 v12, v13, v14, vcc
	v_sub_u32_e32 v9, v10, v9
	v_xor_b32_e32 v12, v12, v11
	v_mul_lo_u32 v10, v9, s24
	v_sub_u32_e32 v12, v12, v11
	v_sub_u32_e32 v10, v10, v8
	v_mul_lo_u32 v11, v12, s24
	v_sub_u32_e32 v9, v4, v9
	v_sub_u32_e32 v13, v11, v6
	v_add_u32_e32 v11, v10, v5
	v_mul_lo_u32 v10, v9, v9
	v_mad_u64_u32 v[10:11], s[10:11], v11, v11, v[10:11]
	v_sub_u32_e32 v11, v4, v12
	v_add_u32_e32 v9, v13, v5
	v_mul_lo_u32 v12, v11, v11
	v_mad_u64_u32 v[12:13], s[10:11], v9, v9, v[12:13]
	v_cmp_lt_u32_e32 vcc, v10, v12
	v_cndmask_b32_e32 v6, v6, v8, vcc
.LBB0_55:
	s_or_b64 exec, exec, s[6:7]
.LBB0_56:
	s_or_b64 exec, exec, s[2:3]
	v_add_u32_e32 v8, s26, v4
	v_cmp_gt_i32_e32 vcc, s25, v8
	s_and_saveexec_b64 s[2:3], vcc
	s_cbranch_execz .LBB0_60
; %bb.57:
	v_mov_b32_e32 v9, s19
	v_add_co_u32_e32 v8, vcc, s18, v0
	v_addc_co_u32_e32 v9, vcc, v9, v1, vcc
	global_load_dword v8, v[8:9], off
	s_waitcnt vmcnt(0)
	v_cmp_ne_u32_e32 vcc, s27, v8
	s_and_saveexec_b64 s[6:7], vcc
	s_cbranch_execz .LBB0_59
; %bb.58:
	v_sub_u32_e32 v10, 0, v8
	v_max_i32_e32 v10, v8, v10
	v_mul_hi_u32 v11, v10, v7
	v_mul_lo_u32 v12, v11, s8
	v_sub_u32_e32 v10, v10, v12
	v_add_u32_e32 v12, 1, v11
	v_cmp_le_u32_e32 vcc, s8, v10
	v_cndmask_b32_e32 v11, v11, v12, vcc
	v_subrev_u32_e32 v12, s8, v10
	v_cndmask_b32_e32 v10, v10, v12, vcc
	v_add_u32_e32 v12, 1, v11
	v_cmp_le_u32_e32 vcc, s8, v10
	v_cndmask_b32_e32 v10, v11, v12, vcc
	v_sub_u32_e32 v12, 0, v6
	v_max_i32_e32 v12, v6, v12
	v_mul_hi_u32 v13, v12, v7
	v_mul_lo_u32 v14, v13, s8
	v_sub_u32_e32 v12, v12, v14
	v_add_u32_e32 v14, 1, v13
	v_cmp_le_u32_e32 vcc, s8, v12
	v_cndmask_b32_e32 v13, v13, v14, vcc
	v_subrev_u32_e32 v14, s8, v12
	v_ashrrev_i32_e32 v9, 31, v8
	v_cndmask_b32_e32 v12, v12, v14, vcc
	v_xor_b32_e32 v9, s9, v9
	v_ashrrev_i32_e32 v11, 31, v6
	v_add_u32_e32 v14, 1, v13
	v_cmp_le_u32_e32 vcc, s8, v12
	v_xor_b32_e32 v10, v10, v9
	v_xor_b32_e32 v11, s9, v11
	v_cndmask_b32_e32 v12, v13, v14, vcc
	v_sub_u32_e32 v9, v10, v9
	v_xor_b32_e32 v12, v12, v11
	v_mul_lo_u32 v10, v9, s24
	v_sub_u32_e32 v12, v12, v11
	v_sub_u32_e32 v10, v10, v8
	v_mul_lo_u32 v11, v12, s24
	v_sub_u32_e32 v9, v4, v9
	v_sub_u32_e32 v13, v11, v6
	v_add_u32_e32 v11, v10, v5
	v_mul_lo_u32 v10, v9, v9
	v_mad_u64_u32 v[10:11], s[10:11], v11, v11, v[10:11]
	v_sub_u32_e32 v11, v4, v12
	v_add_u32_e32 v9, v13, v5
	v_mul_lo_u32 v12, v11, v11
	v_mad_u64_u32 v[12:13], s[10:11], v9, v9, v[12:13]
	v_cmp_lt_u32_e32 vcc, v10, v12
	v_cndmask_b32_e32 v6, v6, v8, vcc
.LBB0_59:
	s_or_b64 exec, exec, s[6:7]
.LBB0_60:
	s_or_b64 exec, exec, s[2:3]
.LBB0_61:
	s_or_b64 exec, exec, s[0:1]
	v_cmp_le_i32_e32 vcc, s26, v4
	s_and_saveexec_b64 s[0:1], vcc
	s_cbranch_execz .LBB0_65
; %bb.62:
	v_mov_b32_e32 v9, s17
	v_add_co_u32_e32 v8, vcc, s16, v0
	v_addc_co_u32_e32 v9, vcc, v9, v1, vcc
	global_load_dword v8, v[8:9], off
	s_waitcnt vmcnt(0)
	v_cmp_ne_u32_e32 vcc, s27, v8
	s_and_saveexec_b64 s[2:3], vcc
	s_cbranch_execz .LBB0_64
; %bb.63:
	v_sub_u32_e32 v10, 0, v8
	v_max_i32_e32 v10, v8, v10
	v_mul_hi_u32 v11, v10, v7
	v_mul_lo_u32 v12, v11, s8
	v_sub_u32_e32 v10, v10, v12
	v_add_u32_e32 v12, 1, v11
	v_cmp_le_u32_e32 vcc, s8, v10
	v_cndmask_b32_e32 v11, v11, v12, vcc
	v_subrev_u32_e32 v12, s8, v10
	v_cndmask_b32_e32 v10, v10, v12, vcc
	v_add_u32_e32 v12, 1, v11
	v_cmp_le_u32_e32 vcc, s8, v10
	v_cndmask_b32_e32 v10, v11, v12, vcc
	v_sub_u32_e32 v12, 0, v6
	v_max_i32_e32 v12, v6, v12
	v_mul_hi_u32 v13, v12, v7
	v_mul_lo_u32 v14, v13, s8
	v_sub_u32_e32 v12, v12, v14
	v_add_u32_e32 v14, 1, v13
	v_cmp_le_u32_e32 vcc, s8, v12
	v_cndmask_b32_e32 v13, v13, v14, vcc
	v_subrev_u32_e32 v14, s8, v12
	v_ashrrev_i32_e32 v9, 31, v8
	v_cndmask_b32_e32 v12, v12, v14, vcc
	v_xor_b32_e32 v9, s9, v9
	v_ashrrev_i32_e32 v11, 31, v6
	v_add_u32_e32 v14, 1, v13
	v_cmp_le_u32_e32 vcc, s8, v12
	v_xor_b32_e32 v10, v10, v9
	v_xor_b32_e32 v11, s9, v11
	v_cndmask_b32_e32 v12, v13, v14, vcc
	v_sub_u32_e32 v9, v10, v9
	v_xor_b32_e32 v12, v12, v11
	v_mul_lo_u32 v10, v9, s24
	v_sub_u32_e32 v12, v12, v11
	v_sub_u32_e32 v10, v10, v8
	v_mul_lo_u32 v11, v12, s24
	v_sub_u32_e32 v9, v4, v9
	v_sub_u32_e32 v13, v11, v6
	v_add_u32_e32 v11, v10, v5
	v_mul_lo_u32 v10, v9, v9
	v_mad_u64_u32 v[10:11], s[6:7], v11, v11, v[10:11]
	v_sub_u32_e32 v11, v4, v12
	v_add_u32_e32 v9, v13, v5
	v_mul_lo_u32 v12, v11, v11
	v_mad_u64_u32 v[12:13], s[6:7], v9, v9, v[12:13]
	v_cmp_lt_u32_e32 vcc, v10, v12
	v_cndmask_b32_e32 v6, v6, v8, vcc
.LBB0_64:
	s_or_b64 exec, exec, s[2:3]
.LBB0_65:
	s_or_b64 exec, exec, s[0:1]
	v_add_u32_e32 v8, s26, v4
	v_cmp_gt_i32_e32 vcc, s25, v8
	s_and_saveexec_b64 s[0:1], vcc
	s_cbranch_execz .LBB0_69
; %bb.66:
	v_mov_b32_e32 v8, s13
	v_add_co_u32_e32 v0, vcc, s12, v0
	v_addc_co_u32_e32 v1, vcc, v8, v1, vcc
	global_load_dword v0, v[0:1], off
	s_waitcnt vmcnt(0)
	v_cmp_ne_u32_e32 vcc, s27, v0
	s_and_saveexec_b64 s[2:3], vcc
	s_cbranch_execz .LBB0_68
; %bb.67:
	v_sub_u32_e32 v8, 0, v0
	v_max_i32_e32 v8, v0, v8
	v_mul_hi_u32 v9, v8, v7
	v_mul_lo_u32 v10, v9, s8
	v_sub_u32_e32 v8, v8, v10
	v_add_u32_e32 v10, 1, v9
	v_cmp_le_u32_e32 vcc, s8, v8
	v_cndmask_b32_e32 v9, v9, v10, vcc
	v_subrev_u32_e32 v10, s8, v8
	v_cndmask_b32_e32 v8, v8, v10, vcc
	v_add_u32_e32 v10, 1, v9
	v_cmp_le_u32_e32 vcc, s8, v8
	v_cndmask_b32_e32 v8, v9, v10, vcc
	v_sub_u32_e32 v10, 0, v6
	v_max_i32_e32 v10, v6, v10
	v_mul_hi_u32 v7, v10, v7
	v_mul_lo_u32 v11, v7, s8
	v_sub_u32_e32 v10, v10, v11
	v_add_u32_e32 v11, 1, v7
	v_cmp_le_u32_e32 vcc, s8, v10
	v_cndmask_b32_e32 v7, v7, v11, vcc
	v_subrev_u32_e32 v11, s8, v10
	v_cndmask_b32_e32 v10, v10, v11, vcc
	v_ashrrev_i32_e32 v1, 31, v0
	v_ashrrev_i32_e32 v9, 31, v6
	v_add_u32_e32 v11, 1, v7
	v_cmp_le_u32_e32 vcc, s8, v10
	v_xor_b32_e32 v1, s9, v1
	v_xor_b32_e32 v9, s9, v9
	v_cndmask_b32_e32 v7, v7, v11, vcc
	v_xor_b32_e32 v8, v8, v1
	v_xor_b32_e32 v7, v7, v9
	v_sub_u32_e32 v1, v8, v1
	v_sub_u32_e32 v7, v7, v9
	v_mul_lo_u32 v8, v1, s24
	v_mul_lo_u32 v9, v7, s24
	v_sub_u32_e32 v8, v8, v0
	v_sub_u32_e32 v10, v9, v6
	;; [unrolled: 1-line block ×4, first 2 shown]
	v_add_u32_e32 v9, v8, v5
	v_mul_lo_u32 v8, v1, v1
	v_add_u32_e32 v1, v10, v5
	v_mul_lo_u32 v4, v4, v4
	v_mad_u64_u32 v[8:9], s[6:7], v9, v9, v[8:9]
	v_mad_u64_u32 v[4:5], s[6:7], v1, v1, v[4:5]
	v_cmp_lt_u32_e32 vcc, v8, v4
	v_cndmask_b32_e32 v6, v6, v0, vcc
.LBB0_68:
	s_or_b64 exec, exec, s[2:3]
.LBB0_69:
	s_or_b64 exec, exec, s[0:1]
	s_mov_b64 s[28:29], -1
.LBB0_70:
	s_and_saveexec_b64 s[0:1], s[28:29]
	s_cbranch_execnz .LBB0_72
; %bb.71:
	s_endpgm
.LBB0_72:
	s_load_dwordx2 s[0:1], s[4:5], 0x50
	v_lshlrev_b64 v[0:1], 2, v[2:3]
	s_waitcnt lgkmcnt(0)
	v_mov_b32_e32 v2, s1
	v_add_co_u32_e32 v0, vcc, s0, v0
	v_addc_co_u32_e32 v1, vcc, v2, v1, vcc
	s_waitcnt vmcnt(0)
	flat_store_dword v[0:1], v6
	s_endpgm
	.section	.rodata,"a",@progbits
	.p2align	6, 0x0
	.amdhsa_kernel _ZN6thrust23THRUST_200600_302600_NS11hip_rocprim14__parallel_for6kernelILj256ENS1_11__transform17unary_transform_fINS0_12zip_iteratorINS0_5tupleINS0_6detail15normal_iteratorINS0_10device_ptrIiEEEESC_SC_SC_SC_SC_SC_SC_SC_NS0_17counting_iteratorIiNS0_11use_defaultESE_SE_EEEEEESC_NS4_14no_stencil_tagE10minFunctorNS4_21always_true_predicateEEElLj1EEEvT0_T1_SN_
		.amdhsa_group_segment_fixed_size 0
		.amdhsa_private_segment_fixed_size 0
		.amdhsa_kernarg_size 120
		.amdhsa_user_sgpr_count 6
		.amdhsa_user_sgpr_private_segment_buffer 1
		.amdhsa_user_sgpr_dispatch_ptr 0
		.amdhsa_user_sgpr_queue_ptr 0
		.amdhsa_user_sgpr_kernarg_segment_ptr 1
		.amdhsa_user_sgpr_dispatch_id 0
		.amdhsa_user_sgpr_flat_scratch_init 0
		.amdhsa_user_sgpr_kernarg_preload_length 0
		.amdhsa_user_sgpr_kernarg_preload_offset 0
		.amdhsa_user_sgpr_private_segment_size 0
		.amdhsa_uses_dynamic_stack 0
		.amdhsa_system_sgpr_private_segment_wavefront_offset 0
		.amdhsa_system_sgpr_workgroup_id_x 1
		.amdhsa_system_sgpr_workgroup_id_y 0
		.amdhsa_system_sgpr_workgroup_id_z 0
		.amdhsa_system_sgpr_workgroup_info 0
		.amdhsa_system_vgpr_workitem_id 0
		.amdhsa_next_free_vgpr 16
		.amdhsa_next_free_sgpr 42
		.amdhsa_accum_offset 16
		.amdhsa_reserve_vcc 1
		.amdhsa_reserve_flat_scratch 0
		.amdhsa_float_round_mode_32 0
		.amdhsa_float_round_mode_16_64 0
		.amdhsa_float_denorm_mode_32 3
		.amdhsa_float_denorm_mode_16_64 3
		.amdhsa_dx10_clamp 1
		.amdhsa_ieee_mode 1
		.amdhsa_fp16_overflow 0
		.amdhsa_tg_split 0
		.amdhsa_exception_fp_ieee_invalid_op 0
		.amdhsa_exception_fp_denorm_src 0
		.amdhsa_exception_fp_ieee_div_zero 0
		.amdhsa_exception_fp_ieee_overflow 0
		.amdhsa_exception_fp_ieee_underflow 0
		.amdhsa_exception_fp_ieee_inexact 0
		.amdhsa_exception_int_div_zero 0
	.end_amdhsa_kernel
	.section	.text._ZN6thrust23THRUST_200600_302600_NS11hip_rocprim14__parallel_for6kernelILj256ENS1_11__transform17unary_transform_fINS0_12zip_iteratorINS0_5tupleINS0_6detail15normal_iteratorINS0_10device_ptrIiEEEESC_SC_SC_SC_SC_SC_SC_SC_NS0_17counting_iteratorIiNS0_11use_defaultESE_SE_EEEEEESC_NS4_14no_stencil_tagE10minFunctorNS4_21always_true_predicateEEElLj1EEEvT0_T1_SN_,"axG",@progbits,_ZN6thrust23THRUST_200600_302600_NS11hip_rocprim14__parallel_for6kernelILj256ENS1_11__transform17unary_transform_fINS0_12zip_iteratorINS0_5tupleINS0_6detail15normal_iteratorINS0_10device_ptrIiEEEESC_SC_SC_SC_SC_SC_SC_SC_NS0_17counting_iteratorIiNS0_11use_defaultESE_SE_EEEEEESC_NS4_14no_stencil_tagE10minFunctorNS4_21always_true_predicateEEElLj1EEEvT0_T1_SN_,comdat
.Lfunc_end0:
	.size	_ZN6thrust23THRUST_200600_302600_NS11hip_rocprim14__parallel_for6kernelILj256ENS1_11__transform17unary_transform_fINS0_12zip_iteratorINS0_5tupleINS0_6detail15normal_iteratorINS0_10device_ptrIiEEEESC_SC_SC_SC_SC_SC_SC_SC_NS0_17counting_iteratorIiNS0_11use_defaultESE_SE_EEEEEESC_NS4_14no_stencil_tagE10minFunctorNS4_21always_true_predicateEEElLj1EEEvT0_T1_SN_, .Lfunc_end0-_ZN6thrust23THRUST_200600_302600_NS11hip_rocprim14__parallel_for6kernelILj256ENS1_11__transform17unary_transform_fINS0_12zip_iteratorINS0_5tupleINS0_6detail15normal_iteratorINS0_10device_ptrIiEEEESC_SC_SC_SC_SC_SC_SC_SC_NS0_17counting_iteratorIiNS0_11use_defaultESE_SE_EEEEEESC_NS4_14no_stencil_tagE10minFunctorNS4_21always_true_predicateEEElLj1EEEvT0_T1_SN_
                                        ; -- End function
	.section	.AMDGPU.csdata,"",@progbits
; Kernel info:
; codeLenInByte = 5256
; NumSgprs: 46
; NumVgprs: 16
; NumAgprs: 0
; TotalNumVgprs: 16
; ScratchSize: 0
; MemoryBound: 0
; FloatMode: 240
; IeeeMode: 1
; LDSByteSize: 0 bytes/workgroup (compile time only)
; SGPRBlocks: 5
; VGPRBlocks: 1
; NumSGPRsForWavesPerEU: 46
; NumVGPRsForWavesPerEU: 16
; AccumOffset: 16
; Occupancy: 8
; WaveLimiterHint : 1
; COMPUTE_PGM_RSRC2:SCRATCH_EN: 0
; COMPUTE_PGM_RSRC2:USER_SGPR: 6
; COMPUTE_PGM_RSRC2:TRAP_HANDLER: 0
; COMPUTE_PGM_RSRC2:TGID_X_EN: 1
; COMPUTE_PGM_RSRC2:TGID_Y_EN: 0
; COMPUTE_PGM_RSRC2:TGID_Z_EN: 0
; COMPUTE_PGM_RSRC2:TIDIG_COMP_CNT: 0
; COMPUTE_PGM_RSRC3_GFX90A:ACCUM_OFFSET: 3
; COMPUTE_PGM_RSRC3_GFX90A:TG_SPLIT: 0
	.text
	.p2alignl 6, 3212836864
	.fill 256, 4, 3212836864
	.type	__hip_cuid_2cf43463b40a266e,@object ; @__hip_cuid_2cf43463b40a266e
	.section	.bss,"aw",@nobits
	.globl	__hip_cuid_2cf43463b40a266e
__hip_cuid_2cf43463b40a266e:
	.byte	0                               ; 0x0
	.size	__hip_cuid_2cf43463b40a266e, 1

	.ident	"AMD clang version 19.0.0git (https://github.com/RadeonOpenCompute/llvm-project roc-6.4.0 25133 c7fe45cf4b819c5991fe208aaa96edf142730f1d)"
	.section	".note.GNU-stack","",@progbits
	.addrsig
	.addrsig_sym __hip_cuid_2cf43463b40a266e
	.amdgpu_metadata
---
amdhsa.kernels:
  - .agpr_count:     0
    .args:
      - .offset:         0
        .size:           104
        .value_kind:     by_value
      - .offset:         104
        .size:           8
        .value_kind:     by_value
      - .offset:         112
        .size:           8
        .value_kind:     by_value
    .group_segment_fixed_size: 0
    .kernarg_segment_align: 8
    .kernarg_segment_size: 120
    .language:       OpenCL C
    .language_version:
      - 2
      - 0
    .max_flat_workgroup_size: 256
    .name:           _ZN6thrust23THRUST_200600_302600_NS11hip_rocprim14__parallel_for6kernelILj256ENS1_11__transform17unary_transform_fINS0_12zip_iteratorINS0_5tupleINS0_6detail15normal_iteratorINS0_10device_ptrIiEEEESC_SC_SC_SC_SC_SC_SC_SC_NS0_17counting_iteratorIiNS0_11use_defaultESE_SE_EEEEEESC_NS4_14no_stencil_tagE10minFunctorNS4_21always_true_predicateEEElLj1EEEvT0_T1_SN_
    .private_segment_fixed_size: 0
    .sgpr_count:     46
    .sgpr_spill_count: 0
    .symbol:         _ZN6thrust23THRUST_200600_302600_NS11hip_rocprim14__parallel_for6kernelILj256ENS1_11__transform17unary_transform_fINS0_12zip_iteratorINS0_5tupleINS0_6detail15normal_iteratorINS0_10device_ptrIiEEEESC_SC_SC_SC_SC_SC_SC_SC_NS0_17counting_iteratorIiNS0_11use_defaultESE_SE_EEEEEESC_NS4_14no_stencil_tagE10minFunctorNS4_21always_true_predicateEEElLj1EEEvT0_T1_SN_.kd
    .uniform_work_group_size: 1
    .uses_dynamic_stack: false
    .vgpr_count:     16
    .vgpr_spill_count: 0
    .wavefront_size: 64
amdhsa.target:   amdgcn-amd-amdhsa--gfx90a
amdhsa.version:
  - 1
  - 2
...

	.end_amdgpu_metadata
